;; amdgpu-corpus repo=ROCm/rocFFT kind=compiled arch=gfx906 opt=O3
	.text
	.amdgcn_target "amdgcn-amd-amdhsa--gfx906"
	.amdhsa_code_object_version 6
	.protected	fft_rtc_fwd_len1540_factors_11_2_7_5_2_wgs_154_tpt_154_halfLds_dp_op_CI_CI_unitstride_sbrr_R2C_dirReg ; -- Begin function fft_rtc_fwd_len1540_factors_11_2_7_5_2_wgs_154_tpt_154_halfLds_dp_op_CI_CI_unitstride_sbrr_R2C_dirReg
	.globl	fft_rtc_fwd_len1540_factors_11_2_7_5_2_wgs_154_tpt_154_halfLds_dp_op_CI_CI_unitstride_sbrr_R2C_dirReg
	.p2align	8
	.type	fft_rtc_fwd_len1540_factors_11_2_7_5_2_wgs_154_tpt_154_halfLds_dp_op_CI_CI_unitstride_sbrr_R2C_dirReg,@function
fft_rtc_fwd_len1540_factors_11_2_7_5_2_wgs_154_tpt_154_halfLds_dp_op_CI_CI_unitstride_sbrr_R2C_dirReg: ; @fft_rtc_fwd_len1540_factors_11_2_7_5_2_wgs_154_tpt_154_halfLds_dp_op_CI_CI_unitstride_sbrr_R2C_dirReg
; %bb.0:
	s_load_dwordx4 s[8:11], s[4:5], 0x58
	s_load_dwordx4 s[12:15], s[4:5], 0x0
	;; [unrolled: 1-line block ×3, first 2 shown]
	v_mul_u32_u24_e32 v1, 0x1aa, v0
	v_add_u32_sdwa v5, s6, v1 dst_sel:DWORD dst_unused:UNUSED_PAD src0_sel:DWORD src1_sel:WORD_1
	v_mov_b32_e32 v3, 0
	s_waitcnt lgkmcnt(0)
	v_cmp_lt_u64_e64 s[0:1], s[14:15], 2
	v_mov_b32_e32 v1, 0
	v_mov_b32_e32 v6, v3
	s_and_b64 vcc, exec, s[0:1]
	v_mov_b32_e32 v2, 0
	s_cbranch_vccnz .LBB0_8
; %bb.1:
	s_load_dwordx2 s[0:1], s[4:5], 0x10
	s_add_u32 s2, s18, 8
	s_addc_u32 s3, s19, 0
	s_add_u32 s6, s16, 8
	v_mov_b32_e32 v1, 0
	s_addc_u32 s7, s17, 0
	v_mov_b32_e32 v2, 0
	s_waitcnt lgkmcnt(0)
	s_add_u32 s20, s0, 8
	v_mov_b32_e32 v57, v2
	s_addc_u32 s21, s1, 0
	s_mov_b64 s[22:23], 1
	v_mov_b32_e32 v56, v1
.LBB0_2:                                ; =>This Inner Loop Header: Depth=1
	s_load_dwordx2 s[24:25], s[20:21], 0x0
                                        ; implicit-def: $vgpr60_vgpr61
	s_waitcnt lgkmcnt(0)
	v_or_b32_e32 v4, s25, v6
	v_cmp_ne_u64_e32 vcc, 0, v[3:4]
	s_and_saveexec_b64 s[0:1], vcc
	s_xor_b64 s[26:27], exec, s[0:1]
	s_cbranch_execz .LBB0_4
; %bb.3:                                ;   in Loop: Header=BB0_2 Depth=1
	v_cvt_f32_u32_e32 v4, s24
	v_cvt_f32_u32_e32 v7, s25
	s_sub_u32 s0, 0, s24
	s_subb_u32 s1, 0, s25
	v_mac_f32_e32 v4, 0x4f800000, v7
	v_rcp_f32_e32 v4, v4
	v_mul_f32_e32 v4, 0x5f7ffffc, v4
	v_mul_f32_e32 v7, 0x2f800000, v4
	v_trunc_f32_e32 v7, v7
	v_mac_f32_e32 v4, 0xcf800000, v7
	v_cvt_u32_f32_e32 v7, v7
	v_cvt_u32_f32_e32 v4, v4
	v_mul_lo_u32 v8, s0, v7
	v_mul_hi_u32 v9, s0, v4
	v_mul_lo_u32 v11, s1, v4
	v_mul_lo_u32 v10, s0, v4
	v_add_u32_e32 v8, v9, v8
	v_add_u32_e32 v8, v8, v11
	v_mul_hi_u32 v9, v4, v10
	v_mul_lo_u32 v11, v4, v8
	v_mul_hi_u32 v13, v4, v8
	v_mul_hi_u32 v12, v7, v10
	v_mul_lo_u32 v10, v7, v10
	v_mul_hi_u32 v14, v7, v8
	v_add_co_u32_e32 v9, vcc, v9, v11
	v_addc_co_u32_e32 v11, vcc, 0, v13, vcc
	v_mul_lo_u32 v8, v7, v8
	v_add_co_u32_e32 v9, vcc, v9, v10
	v_addc_co_u32_e32 v9, vcc, v11, v12, vcc
	v_addc_co_u32_e32 v10, vcc, 0, v14, vcc
	v_add_co_u32_e32 v8, vcc, v9, v8
	v_addc_co_u32_e32 v9, vcc, 0, v10, vcc
	v_add_co_u32_e32 v4, vcc, v4, v8
	v_addc_co_u32_e32 v7, vcc, v7, v9, vcc
	v_mul_lo_u32 v8, s0, v7
	v_mul_hi_u32 v9, s0, v4
	v_mul_lo_u32 v10, s1, v4
	v_mul_lo_u32 v11, s0, v4
	v_add_u32_e32 v8, v9, v8
	v_add_u32_e32 v8, v8, v10
	v_mul_lo_u32 v12, v4, v8
	v_mul_hi_u32 v13, v4, v11
	v_mul_hi_u32 v14, v4, v8
	v_mul_hi_u32 v10, v7, v11
	v_mul_lo_u32 v11, v7, v11
	v_mul_hi_u32 v9, v7, v8
	v_add_co_u32_e32 v12, vcc, v13, v12
	v_addc_co_u32_e32 v13, vcc, 0, v14, vcc
	v_mul_lo_u32 v8, v7, v8
	v_add_co_u32_e32 v11, vcc, v12, v11
	v_addc_co_u32_e32 v10, vcc, v13, v10, vcc
	v_addc_co_u32_e32 v9, vcc, 0, v9, vcc
	v_add_co_u32_e32 v8, vcc, v10, v8
	v_addc_co_u32_e32 v9, vcc, 0, v9, vcc
	v_add_co_u32_e32 v4, vcc, v4, v8
	v_addc_co_u32_e32 v9, vcc, v7, v9, vcc
	v_mad_u64_u32 v[7:8], s[0:1], v5, v9, 0
	v_mul_hi_u32 v10, v5, v4
	v_add_co_u32_e32 v11, vcc, v10, v7
	v_addc_co_u32_e32 v12, vcc, 0, v8, vcc
	v_mad_u64_u32 v[7:8], s[0:1], v6, v4, 0
	v_mad_u64_u32 v[9:10], s[0:1], v6, v9, 0
	v_add_co_u32_e32 v4, vcc, v11, v7
	v_addc_co_u32_e32 v4, vcc, v12, v8, vcc
	v_addc_co_u32_e32 v7, vcc, 0, v10, vcc
	v_add_co_u32_e32 v4, vcc, v4, v9
	v_addc_co_u32_e32 v9, vcc, 0, v7, vcc
	v_mul_lo_u32 v10, s25, v4
	v_mul_lo_u32 v11, s24, v9
	v_mad_u64_u32 v[7:8], s[0:1], s24, v4, 0
	v_add3_u32 v8, v8, v11, v10
	v_sub_u32_e32 v10, v6, v8
	v_mov_b32_e32 v11, s25
	v_sub_co_u32_e32 v7, vcc, v5, v7
	v_subb_co_u32_e64 v10, s[0:1], v10, v11, vcc
	v_subrev_co_u32_e64 v11, s[0:1], s24, v7
	v_subbrev_co_u32_e64 v10, s[0:1], 0, v10, s[0:1]
	v_cmp_le_u32_e64 s[0:1], s25, v10
	v_cndmask_b32_e64 v12, 0, -1, s[0:1]
	v_cmp_le_u32_e64 s[0:1], s24, v11
	v_cndmask_b32_e64 v11, 0, -1, s[0:1]
	v_cmp_eq_u32_e64 s[0:1], s25, v10
	v_cndmask_b32_e64 v10, v12, v11, s[0:1]
	v_add_co_u32_e64 v11, s[0:1], 2, v4
	v_addc_co_u32_e64 v12, s[0:1], 0, v9, s[0:1]
	v_add_co_u32_e64 v13, s[0:1], 1, v4
	v_addc_co_u32_e64 v14, s[0:1], 0, v9, s[0:1]
	v_subb_co_u32_e32 v8, vcc, v6, v8, vcc
	v_cmp_ne_u32_e64 s[0:1], 0, v10
	v_cmp_le_u32_e32 vcc, s25, v8
	v_cndmask_b32_e64 v10, v14, v12, s[0:1]
	v_cndmask_b32_e64 v12, 0, -1, vcc
	v_cmp_le_u32_e32 vcc, s24, v7
	v_cndmask_b32_e64 v7, 0, -1, vcc
	v_cmp_eq_u32_e32 vcc, s25, v8
	v_cndmask_b32_e32 v7, v12, v7, vcc
	v_cmp_ne_u32_e32 vcc, 0, v7
	v_cndmask_b32_e64 v7, v13, v11, s[0:1]
	v_cndmask_b32_e32 v61, v9, v10, vcc
	v_cndmask_b32_e32 v60, v4, v7, vcc
.LBB0_4:                                ;   in Loop: Header=BB0_2 Depth=1
	s_andn2_saveexec_b64 s[0:1], s[26:27]
	s_cbranch_execz .LBB0_6
; %bb.5:                                ;   in Loop: Header=BB0_2 Depth=1
	v_cvt_f32_u32_e32 v4, s24
	s_sub_i32 s26, 0, s24
	v_mov_b32_e32 v61, v3
	v_rcp_iflag_f32_e32 v4, v4
	v_mul_f32_e32 v4, 0x4f7ffffe, v4
	v_cvt_u32_f32_e32 v4, v4
	v_mul_lo_u32 v7, s26, v4
	v_mul_hi_u32 v7, v4, v7
	v_add_u32_e32 v4, v4, v7
	v_mul_hi_u32 v4, v5, v4
	v_mul_lo_u32 v7, v4, s24
	v_add_u32_e32 v8, 1, v4
	v_sub_u32_e32 v7, v5, v7
	v_subrev_u32_e32 v9, s24, v7
	v_cmp_le_u32_e32 vcc, s24, v7
	v_cndmask_b32_e32 v7, v7, v9, vcc
	v_cndmask_b32_e32 v4, v4, v8, vcc
	v_add_u32_e32 v8, 1, v4
	v_cmp_le_u32_e32 vcc, s24, v7
	v_cndmask_b32_e32 v60, v4, v8, vcc
.LBB0_6:                                ;   in Loop: Header=BB0_2 Depth=1
	s_or_b64 exec, exec, s[0:1]
	v_mul_lo_u32 v4, v61, s24
	v_mul_lo_u32 v9, v60, s25
	v_mad_u64_u32 v[7:8], s[0:1], v60, s24, 0
	s_load_dwordx2 s[0:1], s[6:7], 0x0
	s_load_dwordx2 s[24:25], s[2:3], 0x0
	v_add3_u32 v4, v8, v9, v4
	v_sub_co_u32_e32 v5, vcc, v5, v7
	v_subb_co_u32_e32 v4, vcc, v6, v4, vcc
	s_waitcnt lgkmcnt(0)
	v_mul_lo_u32 v6, s0, v4
	v_mul_lo_u32 v7, s1, v5
	v_mad_u64_u32 v[1:2], s[0:1], s0, v5, v[1:2]
	v_mul_lo_u32 v4, s24, v4
	v_mul_lo_u32 v8, s25, v5
	v_mad_u64_u32 v[56:57], s[0:1], s24, v5, v[56:57]
	s_add_u32 s22, s22, 1
	s_addc_u32 s23, s23, 0
	s_add_u32 s2, s2, 8
	v_add3_u32 v57, v8, v57, v4
	s_addc_u32 s3, s3, 0
	v_mov_b32_e32 v4, s14
	s_add_u32 s6, s6, 8
	v_mov_b32_e32 v5, s15
	s_addc_u32 s7, s7, 0
	v_cmp_ge_u64_e32 vcc, s[22:23], v[4:5]
	s_add_u32 s20, s20, 8
	v_add3_u32 v2, v7, v2, v6
	s_addc_u32 s21, s21, 0
	s_cbranch_vccnz .LBB0_9
; %bb.7:                                ;   in Loop: Header=BB0_2 Depth=1
	v_mov_b32_e32 v5, v60
	v_mov_b32_e32 v6, v61
	s_branch .LBB0_2
.LBB0_8:
	v_mov_b32_e32 v57, v2
	v_mov_b32_e32 v61, v6
	;; [unrolled: 1-line block ×4, first 2 shown]
.LBB0_9:
	s_load_dwordx2 s[4:5], s[4:5], 0x28
	s_lshl_b64 s[6:7], s[14:15], 3
	s_add_u32 s2, s18, s6
	s_addc_u32 s3, s19, s7
                                        ; implicit-def: $vgpr58
	s_waitcnt lgkmcnt(0)
	v_cmp_gt_u64_e64 s[0:1], s[4:5], v[60:61]
	v_cmp_le_u64_e32 vcc, s[4:5], v[60:61]
	s_and_saveexec_b64 s[4:5], vcc
	s_xor_b64 s[4:5], exec, s[4:5]
; %bb.10:
	s_mov_b32 s14, 0x1a98ef7
	v_mul_hi_u32 v1, v0, s14
	v_mul_u32_u24_e32 v1, 0x9a, v1
	v_sub_u32_e32 v58, v0, v1
                                        ; implicit-def: $vgpr0
                                        ; implicit-def: $vgpr1_vgpr2
; %bb.11:
	s_andn2_saveexec_b64 s[4:5], s[4:5]
	s_cbranch_execz .LBB0_13
; %bb.12:
	s_add_u32 s6, s16, s6
	s_addc_u32 s7, s17, s7
	s_load_dwordx2 s[6:7], s[6:7], 0x0
	s_mov_b32 s14, 0x1a98ef7
	v_mul_hi_u32 v5, v0, s14
	s_waitcnt lgkmcnt(0)
	v_mul_lo_u32 v6, s7, v60
	v_mul_lo_u32 v7, s6, v61
	v_mad_u64_u32 v[3:4], s[6:7], s6, v60, 0
	v_mul_u32_u24_e32 v5, 0x9a, v5
	v_sub_u32_e32 v58, v0, v5
	v_add3_u32 v4, v4, v7, v6
	v_lshlrev_b64 v[3:4], 4, v[3:4]
	v_mov_b32_e32 v0, s9
	v_add_co_u32_e32 v3, vcc, s8, v3
	v_addc_co_u32_e32 v4, vcc, v0, v4, vcc
	v_lshlrev_b64 v[0:1], 4, v[1:2]
	v_lshlrev_b32_e32 v44, 4, v58
	v_add_co_u32_e32 v0, vcc, v3, v0
	v_addc_co_u32_e32 v1, vcc, v4, v1, vcc
	v_add_co_u32_e32 v31, vcc, v0, v44
	v_addc_co_u32_e32 v32, vcc, 0, v1, vcc
	s_movk_i32 s6, 0x1000
	v_add_co_u32_e32 v16, vcc, s6, v31
	v_addc_co_u32_e32 v17, vcc, 0, v32, vcc
	s_movk_i32 s6, 0x2000
	v_add_co_u32_e32 v24, vcc, s6, v31
	s_movk_i32 s7, 0x3000
	v_addc_co_u32_e32 v25, vcc, 0, v32, vcc
	v_add_co_u32_e32 v33, vcc, s7, v31
	v_addc_co_u32_e32 v34, vcc, 0, v32, vcc
	v_add_co_u32_e32 v40, vcc, 0x4000, v31
	;; [unrolled: 2-line block ×3, first 2 shown]
	global_load_dwordx4 v[0:3], v[31:32], off
	global_load_dwordx4 v[4:7], v[31:32], off offset:2464
	global_load_dwordx4 v[8:11], v[16:17], off offset:832
	global_load_dwordx4 v[12:15], v[16:17], off offset:3296
	s_nop 0
	global_load_dwordx4 v[16:19], v[24:25], off offset:1664
	global_load_dwordx4 v[20:23], v[33:34], off offset:32
	s_nop 0
	global_load_dwordx4 v[24:27], v[33:34], off offset:2496
	global_load_dwordx4 v[28:31], v[40:41], off offset:864
	v_addc_co_u32_e32 v43, vcc, 0, v32, vcc
	global_load_dwordx4 v[32:35], v[40:41], off offset:3328
	global_load_dwordx4 v[36:39], v[42:43], off offset:1696
	v_add_u32_e32 v40, 0, v44
	s_waitcnt vmcnt(9)
	ds_write_b128 v40, v[0:3]
	s_waitcnt vmcnt(8)
	ds_write_b128 v40, v[4:7] offset:2464
	s_waitcnt vmcnt(7)
	ds_write_b128 v40, v[8:11] offset:4928
	;; [unrolled: 2-line block ×9, first 2 shown]
.LBB0_13:
	s_or_b64 exec, exec, s[4:5]
	v_lshl_add_u32 v114, v58, 4, 0
	s_waitcnt lgkmcnt(0)
	s_barrier
	ds_read_b128 v[4:7], v114 offset:22400
	ds_read_b128 v[40:43], v114 offset:2240
	ds_read_b128 v[12:15], v114
	ds_read_b128 v[8:11], v114 offset:20160
	ds_read_b128 v[44:47], v114 offset:4480
	s_mov_b32 s6, 0xf8bb580b
	s_waitcnt lgkmcnt(3)
	v_add_f64 v[72:73], v[42:43], -v[6:7]
	v_add_f64 v[76:77], v[40:41], -v[4:5]
	s_mov_b32 s7, 0xbfe14ced
	v_add_f64 v[50:51], v[40:41], v[4:5]
	s_waitcnt lgkmcnt(0)
	v_add_f64 v[84:85], v[46:47], -v[10:11]
	v_add_f64 v[64:65], v[42:43], v[6:7]
	v_add_f64 v[80:81], v[44:45], -v[8:9]
	s_mov_b32 s4, 0x8764f0ba
	v_mul_f64 v[48:49], v[72:73], s[6:7]
	v_mul_f64 v[54:55], v[76:77], s[6:7]
	s_mov_b32 s18, 0x8eee2c13
	s_mov_b32 s5, 0x3feaeb8c
	;; [unrolled: 1-line block ×3, first 2 shown]
	v_add_f64 v[62:63], v[44:45], v[8:9]
	v_mul_f64 v[52:53], v[84:85], s[18:19]
	v_add_f64 v[74:75], v[46:47], v[10:11]
	v_fma_f64 v[0:1], v[50:51], s[4:5], v[48:49]
	v_fma_f64 v[2:3], v[64:65], s[4:5], -v[54:55]
	v_mul_f64 v[66:67], v[80:81], s[18:19]
	s_mov_b32 s14, 0xd9c712b6
	s_mov_b32 s15, 0x3fda9628
	ds_read_b128 v[36:39], v114 offset:6720
	ds_read_b128 v[16:19], v114 offset:17920
	v_fma_f64 v[20:21], v[62:63], s[14:15], v[52:53]
	s_mov_b32 s20, 0x43842ef
	v_add_f64 v[0:1], v[12:13], v[0:1]
	v_add_f64 v[2:3], v[14:15], v[2:3]
	v_fma_f64 v[22:23], v[74:75], s[14:15], -v[66:67]
	s_waitcnt lgkmcnt(0)
	v_add_f64 v[86:87], v[38:39], -v[18:19]
	v_add_f64 v[94:95], v[36:37], -v[16:17]
	s_mov_b32 s21, 0xbfefac9e
	v_add_f64 v[70:71], v[36:37], v[16:17]
	v_add_f64 v[82:83], v[38:39], v[18:19]
	;; [unrolled: 1-line block ×3, first 2 shown]
	s_mov_b32 s16, 0x640f44db
	v_add_f64 v[2:3], v[22:23], v[2:3]
	ds_read_b128 v[20:23], v114 offset:15680
	ds_read_b128 v[32:35], v114 offset:8960
	v_mul_f64 v[68:69], v[86:87], s[20:21]
	v_mul_f64 v[78:79], v[94:95], s[20:21]
	ds_read_b128 v[24:27], v114 offset:11200
	ds_read_b128 v[28:31], v114 offset:13440
	s_mov_b32 s24, 0xbb3a28a1
	s_waitcnt lgkmcnt(2)
	v_add_f64 v[98:99], v[34:35], -v[22:23]
	v_add_f64 v[108:109], v[32:33], -v[20:21]
	s_mov_b32 s17, 0xbfc2375f
	s_mov_b32 s25, 0xbfe82f19
	v_fma_f64 v[96:97], v[70:71], s[16:17], v[68:69]
	v_fma_f64 v[100:101], v[82:83], s[16:17], -v[78:79]
	v_add_f64 v[90:91], v[32:33], v[20:21]
	v_add_f64 v[106:107], v[34:35], v[22:23]
	v_mul_f64 v[88:89], v[98:99], s[24:25]
	v_mul_f64 v[92:93], v[108:109], s[24:25]
	s_waitcnt lgkmcnt(0)
	v_add_f64 v[102:103], v[26:27], -v[30:31]
	v_add_f64 v[112:113], v[24:25], -v[28:29]
	s_mov_b32 s22, 0x7f775887
	s_mov_b32 s28, 0xfd768dbf
	;; [unrolled: 1-line block ×4, first 2 shown]
	v_add_f64 v[0:1], v[96:97], v[0:1]
	v_add_f64 v[2:3], v[100:101], v[2:3]
	v_fma_f64 v[115:116], v[90:91], s[22:23], v[88:89]
	v_fma_f64 v[117:118], v[106:107], s[22:23], -v[92:93]
	v_add_f64 v[96:97], v[24:25], v[28:29]
	v_mul_f64 v[100:101], v[102:103], s[28:29]
	v_add_f64 v[110:111], v[26:27], v[30:31]
	v_mul_f64 v[104:105], v[112:113], s[28:29]
	s_mov_b32 s26, 0x9bcd5057
	s_mov_b32 s27, 0xbfeeb42a
	v_add_f64 v[0:1], v[115:116], v[0:1]
	v_add_f64 v[2:3], v[117:118], v[2:3]
	s_movk_i32 s8, 0x8c
	v_fma_f64 v[115:116], v[96:97], s[26:27], v[100:101]
	v_cmp_gt_u32_e32 vcc, s8, v58
	v_fma_f64 v[117:118], v[110:111], s[26:27], -v[104:105]
	s_barrier
	v_add_f64 v[0:1], v[115:116], v[0:1]
	v_add_f64 v[2:3], v[117:118], v[2:3]
	s_and_saveexec_b64 s[8:9], vcc
	s_cbranch_execz .LBB0_15
; %bb.14:
	v_mul_f64 v[115:116], v[64:65], s[26:27]
	v_mul_f64 v[117:118], v[72:73], s[28:29]
	s_mov_b32 s35, 0x3fd207e7
	s_mov_b32 s34, s28
	;; [unrolled: 1-line block ×4, first 2 shown]
	v_mul_f64 v[119:120], v[74:75], s[4:5]
	v_mul_f64 v[123:124], v[84:85], s[30:31]
	v_fma_f64 v[121:122], v[76:77], s[34:35], v[115:116]
	v_fma_f64 v[125:126], v[50:51], s[26:27], v[117:118]
	v_mul_f64 v[127:128], v[82:83], s[22:23]
	v_mul_f64 v[129:130], v[86:87], s[24:25]
	s_mov_b32 s39, 0x3fe82f19
	s_mov_b32 s38, s24
	v_fma_f64 v[133:134], v[80:81], s[6:7], v[119:120]
	v_fma_f64 v[135:136], v[62:63], s[4:5], v[123:124]
	v_add_f64 v[121:122], v[14:15], v[121:122]
	v_add_f64 v[125:126], v[12:13], v[125:126]
	s_mov_b32 s41, 0x3fed1bb4
	s_mov_b32 s40, s18
	v_mul_f64 v[131:132], v[106:107], s[14:15]
	v_fma_f64 v[137:138], v[94:95], s[38:39], v[127:128]
	v_fma_f64 v[139:140], v[70:71], s[22:23], v[129:130]
	v_mul_f64 v[141:142], v[102:103], s[20:21]
	v_add_f64 v[121:122], v[133:134], v[121:122]
	v_mul_f64 v[133:134], v[98:99], s[40:41]
	v_add_f64 v[125:126], v[135:136], v[125:126]
	v_mul_f64 v[135:136], v[110:111], s[16:17]
	v_fma_f64 v[115:116], v[76:77], s[28:29], v[115:116]
	v_fma_f64 v[143:144], v[108:109], s[18:19], v[131:132]
	s_mov_b32 s37, 0x3fefac9e
	s_mov_b32 s36, s20
	v_add_f64 v[121:122], v[137:138], v[121:122]
	v_fma_f64 v[145:146], v[90:91], s[14:15], v[133:134]
	v_add_f64 v[125:126], v[139:140], v[125:126]
	v_mul_f64 v[137:138], v[64:65], s[22:23]
	v_fma_f64 v[139:140], v[112:113], s[36:37], v[135:136]
	v_fma_f64 v[119:120], v[80:81], s[30:31], v[119:120]
	v_add_f64 v[115:116], v[14:15], v[115:116]
	v_fma_f64 v[117:118], v[50:51], s[26:27], -v[117:118]
	v_add_f64 v[121:122], v[143:144], v[121:122]
	v_mul_f64 v[143:144], v[72:73], s[24:25]
	v_fma_f64 v[147:148], v[96:97], s[16:17], v[141:142]
	v_add_f64 v[125:126], v[145:146], v[125:126]
	v_fma_f64 v[127:128], v[94:95], s[24:25], v[127:128]
	v_fma_f64 v[123:124], v[62:63], s[4:5], -v[123:124]
	v_add_f64 v[119:120], v[119:120], v[115:116]
	v_add_f64 v[145:146], v[12:13], v[117:118]
	;; [unrolled: 1-line block ×3, first 2 shown]
	v_fma_f64 v[121:122], v[76:77], s[38:39], v[137:138]
	v_mul_f64 v[139:140], v[74:75], s[16:17]
	v_add_f64 v[115:116], v[147:148], v[125:126]
	v_fma_f64 v[125:126], v[50:51], s[22:23], v[143:144]
	v_mul_f64 v[147:148], v[84:85], s[36:37]
	v_add_f64 v[119:120], v[127:128], v[119:120]
	v_add_f64 v[123:124], v[123:124], v[145:146]
	v_fma_f64 v[127:128], v[70:71], s[22:23], -v[129:130]
	v_add_f64 v[121:122], v[14:15], v[121:122]
	v_fma_f64 v[129:130], v[80:81], s[20:21], v[139:140]
	v_mul_f64 v[145:146], v[82:83], s[4:5]
	v_add_f64 v[125:126], v[12:13], v[125:126]
	v_fma_f64 v[149:150], v[62:63], s[16:17], v[147:148]
	v_mul_f64 v[151:152], v[86:87], s[6:7]
	v_fma_f64 v[131:132], v[108:109], s[40:41], v[131:132]
	v_add_f64 v[123:124], v[127:128], v[123:124]
	v_fma_f64 v[127:128], v[90:91], s[14:15], -v[133:134]
	v_add_f64 v[121:122], v[129:130], v[121:122]
	v_fma_f64 v[129:130], v[94:95], s[30:31], v[145:146]
	v_mul_f64 v[133:134], v[106:107], s[26:27]
	v_add_f64 v[125:126], v[149:150], v[125:126]
	v_fma_f64 v[149:150], v[70:71], s[4:5], v[151:152]
	v_mul_f64 v[153:154], v[98:99], s[28:29]
	v_add_f64 v[119:120], v[131:132], v[119:120]
	v_add_f64 v[123:124], v[127:128], v[123:124]
	v_fma_f64 v[127:128], v[112:113], s[20:21], v[135:136]
	v_add_f64 v[129:130], v[129:130], v[121:122]
	v_fma_f64 v[135:136], v[108:109], s[34:35], v[133:134]
	v_fma_f64 v[131:132], v[96:97], s[16:17], -v[141:142]
	v_add_f64 v[125:126], v[149:150], v[125:126]
	v_mul_f64 v[149:150], v[110:111], s[14:15]
	v_fma_f64 v[141:142], v[90:91], s[26:27], v[153:154]
	v_mul_f64 v[155:156], v[102:103], s[40:41]
	v_add_f64 v[121:122], v[127:128], v[119:120]
	v_fma_f64 v[119:120], v[76:77], s[24:25], v[137:138]
	v_add_f64 v[42:43], v[14:15], v[42:43]
	v_add_f64 v[127:128], v[135:136], v[129:130]
	;; [unrolled: 1-line block ×3, first 2 shown]
	v_fma_f64 v[129:130], v[112:113], s[18:19], v[149:150]
	v_add_f64 v[125:126], v[141:142], v[125:126]
	v_fma_f64 v[135:136], v[96:97], s[14:15], v[155:156]
	v_fma_f64 v[137:138], v[80:81], s[36:37], v[139:140]
	v_add_f64 v[139:140], v[14:15], v[119:120]
	v_add_f64 v[119:120], v[131:132], v[123:124]
	;; [unrolled: 1-line block ×3, first 2 shown]
	v_fma_f64 v[123:124], v[50:51], s[22:23], -v[143:144]
	v_add_f64 v[42:43], v[129:130], v[127:128]
	v_mul_f64 v[127:128], v[64:65], s[16:17]
	v_add_f64 v[44:45], v[40:41], v[44:45]
	v_add_f64 v[40:41], v[135:136], v[125:126]
	;; [unrolled: 1-line block ×3, first 2 shown]
	v_mul_f64 v[129:130], v[72:73], s[20:21]
	v_fma_f64 v[131:132], v[94:95], s[6:7], v[145:146]
	v_fma_f64 v[135:136], v[62:63], s[16:17], -v[147:148]
	v_add_f64 v[123:124], v[12:13], v[123:124]
	v_add_f64 v[38:39], v[46:47], v[38:39]
	v_fma_f64 v[46:47], v[76:77], s[36:37], v[127:128]
	v_mul_f64 v[137:138], v[74:75], s[26:27]
	v_add_f64 v[44:45], v[44:45], v[36:37]
	v_fma_f64 v[36:37], v[50:51], s[16:17], v[129:130]
	v_mul_f64 v[139:140], v[84:85], s[34:35]
	v_add_f64 v[125:126], v[131:132], v[125:126]
	v_add_f64 v[123:124], v[135:136], v[123:124]
	v_fma_f64 v[131:132], v[70:71], s[4:5], -v[151:152]
	v_add_f64 v[46:47], v[14:15], v[46:47]
	v_fma_f64 v[135:136], v[80:81], s[28:29], v[137:138]
	v_mul_f64 v[141:142], v[82:83], s[14:15]
	v_add_f64 v[36:37], v[12:13], v[36:37]
	v_fma_f64 v[143:144], v[62:63], s[26:27], v[139:140]
	v_mul_f64 v[145:146], v[86:87], s[40:41]
	v_fma_f64 v[133:134], v[108:109], s[28:29], v[133:134]
	v_add_f64 v[123:124], v[131:132], v[123:124]
	v_fma_f64 v[131:132], v[90:91], s[26:27], -v[153:154]
	v_add_f64 v[46:47], v[135:136], v[46:47]
	v_fma_f64 v[135:136], v[94:95], s[18:19], v[141:142]
	v_mul_f64 v[147:148], v[106:107], s[4:5]
	v_add_f64 v[36:37], v[143:144], v[36:37]
	v_fma_f64 v[143:144], v[70:71], s[14:15], v[145:146]
	v_add_f64 v[125:126], v[133:134], v[125:126]
	v_mul_f64 v[153:154], v[110:111], s[22:23]
	v_add_f64 v[123:124], v[131:132], v[123:124]
	v_fma_f64 v[131:132], v[112:113], s[40:41], v[149:150]
	v_add_f64 v[46:47], v[135:136], v[46:47]
	v_fma_f64 v[135:136], v[108:109], s[30:31], v[147:148]
	v_mul_f64 v[151:152], v[98:99], s[6:7]
	v_add_f64 v[143:144], v[143:144], v[36:37]
	v_add_f64 v[38:39], v[38:39], v[34:35]
	;; [unrolled: 1-line block ×3, first 2 shown]
	v_fma_f64 v[133:134], v[96:97], s[14:15], -v[155:156]
	v_add_f64 v[36:37], v[131:132], v[125:126]
	v_fma_f64 v[125:126], v[76:77], s[20:21], v[127:128]
	v_add_f64 v[44:45], v[135:136], v[46:47]
	v_fma_f64 v[127:128], v[112:113], s[38:39], v[153:154]
	v_fma_f64 v[149:150], v[90:91], s[4:5], v[151:152]
	v_mul_f64 v[155:156], v[102:103], s[24:25]
	v_add_f64 v[38:39], v[38:39], v[26:27]
	v_fma_f64 v[135:136], v[80:81], s[34:35], v[137:138]
	v_add_f64 v[34:35], v[133:134], v[123:124]
	v_add_f64 v[125:126], v[14:15], v[125:126]
	v_mul_f64 v[123:124], v[64:65], s[14:15]
	v_add_f64 v[26:27], v[127:128], v[44:45]
	v_fma_f64 v[44:45], v[50:51], s[16:17], -v[129:130]
	v_add_f64 v[46:47], v[149:150], v[143:144]
	v_fma_f64 v[131:132], v[96:97], s[22:23], v[155:156]
	v_add_f64 v[38:39], v[38:39], v[30:31]
	v_fma_f64 v[30:31], v[62:63], s[26:27], -v[139:140]
	v_add_f64 v[32:33], v[32:33], v[24:25]
	v_fma_f64 v[127:128], v[76:77], s[40:41], v[123:124]
	v_mul_f64 v[129:130], v[74:75], s[22:23]
	v_add_f64 v[44:45], v[12:13], v[44:45]
	v_mul_f64 v[133:134], v[106:107], s[16:17]
	v_add_f64 v[24:25], v[131:132], v[46:47]
	v_add_f64 v[46:47], v[135:136], v[125:126]
	v_fma_f64 v[125:126], v[94:95], s[40:41], v[141:142]
	v_add_f64 v[28:29], v[32:33], v[28:29]
	v_mul_f64 v[32:33], v[72:73], s[18:19]
	v_add_f64 v[72:73], v[14:15], v[127:128]
	v_add_f64 v[30:31], v[30:31], v[44:45]
	v_fma_f64 v[44:45], v[76:77], s[18:19], v[123:124]
	v_mul_f64 v[127:128], v[82:83], s[26:27]
	v_fma_f64 v[123:124], v[70:71], s[14:15], -v[145:146]
	v_add_f64 v[46:47], v[125:126], v[46:47]
	v_fma_f64 v[125:126], v[80:81], s[38:39], v[129:130]
	v_fma_f64 v[80:81], v[80:81], s[24:25], v[129:130]
	v_mul_f64 v[64:65], v[64:65], s[4:5]
	v_mul_f64 v[84:85], v[84:85], s[24:25]
	v_add_f64 v[44:45], v[14:15], v[44:45]
	v_mul_f64 v[74:75], v[74:75], s[14:15]
	v_add_f64 v[30:31], v[123:124], v[30:31]
	v_fma_f64 v[123:124], v[90:91], s[4:5], -v[151:152]
	v_add_f64 v[72:73], v[125:126], v[72:73]
	v_fma_f64 v[125:126], v[94:95], s[28:29], v[127:128]
	v_fma_f64 v[94:95], v[94:95], s[34:35], v[127:128]
	v_add_f64 v[54:55], v[54:55], v[64:65]
	v_add_f64 v[44:45], v[80:81], v[44:45]
	v_fma_f64 v[76:77], v[50:51], s[14:15], v[32:33]
	v_fma_f64 v[129:130], v[62:63], s[22:23], v[84:85]
	v_add_f64 v[123:124], v[123:124], v[30:31]
	v_fma_f64 v[30:31], v[108:109], s[36:37], v[133:134]
	v_fma_f64 v[32:33], v[50:51], s[14:15], -v[32:33]
	v_add_f64 v[66:67], v[66:67], v[74:75]
	v_mul_f64 v[74:75], v[82:83], s[16:17]
	v_add_f64 v[44:45], v[94:95], v[44:45]
	v_add_f64 v[14:15], v[14:15], v[54:55]
	v_mul_f64 v[64:65], v[70:71], s[16:17]
	v_add_f64 v[76:77], v[12:13], v[76:77]
	v_mul_f64 v[86:87], v[86:87], s[34:35]
	v_add_f64 v[22:23], v[38:39], v[22:23]
	v_add_f64 v[20:21], v[28:29], v[20:21]
	;; [unrolled: 1-line block ×4, first 2 shown]
	v_mul_f64 v[30:31], v[50:51], s[4:5]
	v_fma_f64 v[50:51], v[62:63], s[22:23], -v[84:85]
	v_mul_f64 v[62:63], v[62:63], s[14:15]
	v_mul_f64 v[84:85], v[106:107], s[22:23]
	v_add_f64 v[14:15], v[66:67], v[14:15]
	v_mul_f64 v[82:83], v[90:91], s[22:23]
	v_add_f64 v[64:65], v[64:65], -v[68:69]
	v_add_f64 v[72:73], v[125:126], v[72:73]
	v_add_f64 v[48:49], v[30:31], -v[48:49]
	v_fma_f64 v[125:126], v[70:71], s[26:27], v[86:87]
	v_add_f64 v[52:53], v[62:63], -v[52:53]
	v_mul_f64 v[98:99], v[98:99], s[36:37]
	v_fma_f64 v[70:71], v[70:71], s[26:27], -v[86:87]
	v_fma_f64 v[131:132], v[108:109], s[6:7], v[147:148]
	v_fma_f64 v[80:81], v[108:109], s[20:21], v[133:134]
	v_add_f64 v[76:77], v[129:130], v[76:77]
	v_add_f64 v[48:49], v[12:13], v[48:49]
	;; [unrolled: 1-line block ×3, first 2 shown]
	v_mul_f64 v[106:107], v[110:111], s[26:27]
	v_add_f64 v[14:15], v[74:75], v[14:15]
	v_add_f64 v[18:19], v[22:23], v[18:19]
	;; [unrolled: 1-line block ×3, first 2 shown]
	v_mul_f64 v[62:63], v[96:97], s[26:27]
	v_mul_f64 v[127:128], v[110:111], s[4:5]
	v_add_f64 v[28:29], v[52:53], v[48:49]
	v_add_f64 v[12:13], v[50:51], v[12:13]
	;; [unrolled: 1-line block ×3, first 2 shown]
	v_add_f64 v[50:51], v[82:83], -v[88:89]
	v_mul_f64 v[54:55], v[102:103], s[30:31]
	v_fma_f64 v[38:39], v[90:91], s[16:17], -v[98:99]
	v_add_f64 v[46:47], v[131:132], v[46:47]
	v_add_f64 v[72:73], v[80:81], v[72:73]
	;; [unrolled: 1-line block ×4, first 2 shown]
	v_fma_f64 v[80:81], v[112:113], s[24:25], v[153:154]
	v_add_f64 v[76:77], v[125:126], v[76:77]
	v_fma_f64 v[32:33], v[90:91], s[16:17], v[98:99]
	v_add_f64 v[28:29], v[104:105], v[106:107]
	v_add_f64 v[14:15], v[48:49], v[14:15]
	;; [unrolled: 1-line block ×4, first 2 shown]
	v_add_f64 v[48:49], v[62:63], -v[100:101]
	v_add_f64 v[20:21], v[50:51], v[20:21]
	v_fma_f64 v[108:109], v[112:113], s[30:31], v[127:128]
	v_fma_f64 v[22:23], v[96:97], s[4:5], -v[54:55]
	v_add_f64 v[38:39], v[38:39], v[12:13]
	v_add_f64 v[30:31], v[80:81], v[46:47]
	v_fma_f64 v[46:47], v[96:97], s[22:23], -v[155:156]
	v_fma_f64 v[94:95], v[112:113], s[6:7], v[127:128]
	v_fma_f64 v[50:51], v[96:97], s[4:5], v[54:55]
	v_add_f64 v[32:33], v[32:33], v[76:77]
	v_add_f64 v[12:13], v[28:29], v[14:15]
	;; [unrolled: 1-line block ×8, first 2 shown]
	s_movk_i32 s4, 0xa0
	v_mad_u32_u24 v4, v58, s4, v114
	v_add_f64 v[20:21], v[94:95], v[72:73]
	v_add_f64 v[18:19], v[50:51], v[32:33]
	ds_write_b128 v4, v[14:17]
	ds_write_b128 v4, v[10:13] offset:16
	ds_write_b128 v4, v[6:9] offset:32
	;; [unrolled: 1-line block ×10, first 2 shown]
.LBB0_15:
	s_or_b64 exec, exec, s[8:9]
	s_movk_i32 s4, 0x75
	v_mul_lo_u16_sdwa v6, v58, s4 dst_sel:DWORD dst_unused:UNUSED_PAD src0_sel:BYTE_0 src1_sel:DWORD
	v_sub_u16_sdwa v7, v58, v6 dst_sel:DWORD dst_unused:UNUSED_PAD src0_sel:DWORD src1_sel:BYTE_1
	v_lshrrev_b16_e32 v7, 1, v7
	v_and_b32_e32 v7, 0x7f, v7
	v_add_u16_sdwa v6, v7, v6 dst_sel:DWORD dst_unused:UNUSED_PAD src0_sel:DWORD src1_sel:BYTE_1
	v_lshrrev_b16_e32 v72, 3, v6
	v_mul_lo_u16_e32 v6, 11, v72
	v_add_u32_e32 v4, 0x134, v58
	v_sub_u16_e32 v6, v58, v6
	v_mov_b32_e32 v63, 4
	s_mov_b32 s4, 0xba2f
	v_lshlrev_b32_sdwa v73, v63, v6 dst_sel:DWORD dst_unused:UNUSED_PAD src0_sel:DWORD src1_sel:BYTE_0
	v_mul_u32_u24_sdwa v6, v4, s4 dst_sel:DWORD dst_unused:UNUSED_PAD src0_sel:WORD_0 src1_sel:DWORD
	v_lshrrev_b32_e32 v75, 19, v6
	v_add_u32_e32 v12, 0x268, v58
	v_mul_lo_u16_e32 v6, 11, v75
	v_add_u32_e32 v59, 0x9a, v58
	v_add_u32_e32 v5, 0x1ce, v58
	v_sub_u16_e32 v4, v4, v6
	v_mul_u32_u24_sdwa v13, v12, s4 dst_sel:DWORD dst_unused:UNUSED_PAD src0_sel:WORD_0 src1_sel:DWORD
	v_mul_u32_u24_sdwa v62, v59, s4 dst_sel:DWORD dst_unused:UNUSED_PAD src0_sel:WORD_0 src1_sel:DWORD
	v_lshlrev_b32_e32 v76, 4, v4
	v_mul_u32_u24_sdwa v4, v5, s4 dst_sel:DWORD dst_unused:UNUSED_PAD src0_sel:WORD_0 src1_sel:DWORD
	v_lshrrev_b32_e32 v79, 19, v13
	v_lshrrev_b32_e32 v74, 19, v62
	;; [unrolled: 1-line block ×3, first 2 shown]
	v_mul_lo_u16_e32 v13, 11, v79
	v_mul_lo_u16_e32 v16, 11, v74
	;; [unrolled: 1-line block ×3, first 2 shown]
	v_sub_u16_e32 v12, v12, v13
	v_sub_u16_e32 v4, v5, v4
	v_lshlrev_b32_e32 v80, 4, v12
	v_sub_u16_e32 v20, v59, v16
	s_load_dwordx2 s[2:3], s[2:3], 0x0
	s_waitcnt lgkmcnt(0)
	s_barrier
	v_lshlrev_b32_e32 v78, 4, v4
	global_load_dwordx4 v[4:7], v76, s[12:13]
	global_load_dwordx4 v[8:11], v78, s[12:13]
	;; [unrolled: 1-line block ×4, first 2 shown]
	v_lshlrev_b32_e32 v81, 4, v20
	global_load_dwordx4 v[20:23], v81, s[12:13]
	ds_read_b128 v[24:27], v114
	ds_read_b128 v[28:31], v114 offset:2464
	ds_read_b128 v[32:35], v114 offset:14784
	;; [unrolled: 1-line block ×9, first 2 shown]
	v_mul_u32_u24_e32 v77, 0x160, v77
	v_mul_u32_u24_e32 v79, 0x160, v79
	;; [unrolled: 1-line block ×4, first 2 shown]
	v_add3_u32 v84, 0, v77, v78
	v_add3_u32 v85, 0, v79, v80
	;; [unrolled: 1-line block ×4, first 2 shown]
	v_mul_u32_u24_e32 v75, 0x160, v75
	v_add3_u32 v83, 0, v75, v76
	s_waitcnt vmcnt(0) lgkmcnt(0)
	s_barrier
	s_movk_i32 s4, 0x42
	v_cmp_gt_u32_e32 vcc, s4, v58
	v_mul_f64 v[72:73], v[38:39], v[6:7]
	v_mul_f64 v[6:7], v[36:37], v[6:7]
	;; [unrolled: 1-line block ×10, first 2 shown]
	v_fma_f64 v[36:37], v[36:37], v[4:5], -v[72:73]
	v_fma_f64 v[4:5], v[38:39], v[4:5], v[6:7]
	v_fma_f64 v[38:39], v[48:49], v[16:17], -v[78:79]
	v_fma_f64 v[48:49], v[50:51], v[16:17], v[18:19]
	;; [unrolled: 2-line block ×5, first 2 shown]
	v_add_f64 v[20:21], v[24:25], -v[38:39]
	v_add_f64 v[22:23], v[26:27], -v[48:49]
	;; [unrolled: 1-line block ×10, first 2 shown]
	v_fma_f64 v[24:25], v[24:25], 2.0, -v[20:21]
	v_fma_f64 v[26:27], v[26:27], 2.0, -v[22:23]
	;; [unrolled: 1-line block ×10, first 2 shown]
	ds_write_b128 v86, v[20:23] offset:176
	ds_write_b128 v86, v[24:27]
	ds_write_b128 v82, v[28:31]
	ds_write_b128 v82, v[32:35] offset:176
	ds_write_b128 v83, v[36:39]
	ds_write_b128 v83, v[16:19] offset:176
	;; [unrolled: 2-line block ×4, first 2 shown]
	s_waitcnt lgkmcnt(0)
	s_barrier
	ds_read_b128 v[28:31], v114
	ds_read_b128 v[48:51], v114 offset:3520
	ds_read_b128 v[44:47], v114 offset:7040
	;; [unrolled: 1-line block ×6, first 2 shown]
                                        ; implicit-def: $vgpr26_vgpr27
                                        ; implicit-def: $vgpr22_vgpr23
                                        ; implicit-def: $vgpr18_vgpr19
	s_and_saveexec_b64 s[4:5], vcc
	s_cbranch_execz .LBB0_17
; %bb.16:
	ds_read_b128 v[4:7], v114 offset:2464
	ds_read_b128 v[8:11], v114 offset:5984
	;; [unrolled: 1-line block ×7, first 2 shown]
.LBB0_17:
	s_or_b64 exec, exec, s[4:5]
	v_lshrrev_b16_e32 v64, 1, v58
	v_and_b32_e32 v64, 0x7f, v64
	v_mul_lo_u16_e32 v64, 0xbb, v64
	v_lshrrev_b16_e32 v88, 11, v64
	v_mul_lo_u16_e32 v64, 22, v88
	v_sub_u16_e32 v89, v58, v64
	v_mov_b32_e32 v64, 6
	v_mul_u32_u24_sdwa v64, v89, v64 dst_sel:DWORD dst_unused:UNUSED_PAD src0_sel:BYTE_0 src1_sel:DWORD
	v_lshlrev_b32_e32 v90, 4, v64
	global_load_dwordx4 v[64:67], v90, s[12:13] offset:176
	global_load_dwordx4 v[68:71], v90, s[12:13] offset:192
	;; [unrolled: 1-line block ×6, first 2 shown]
	v_mul_u32_u24_e32 v88, 0x9a0, v88
	v_lshlrev_b32_sdwa v63, v63, v89 dst_sel:DWORD dst_unused:UNUSED_PAD src0_sel:DWORD src1_sel:BYTE_0
	v_add3_u32 v100, 0, v88, v63
	s_mov_b32 s4, 0x37e14327
	s_mov_b32 s6, 0x36b3c0b5
	;; [unrolled: 1-line block ×20, first 2 shown]
	s_waitcnt vmcnt(0) lgkmcnt(0)
	s_barrier
	v_mul_f64 v[88:89], v[50:51], v[66:67]
	v_mul_f64 v[66:67], v[48:49], v[66:67]
	;; [unrolled: 1-line block ×12, first 2 shown]
	v_fma_f64 v[48:49], v[48:49], v[64:65], -v[88:89]
	v_fma_f64 v[50:51], v[50:51], v[64:65], v[66:67]
	v_fma_f64 v[44:45], v[44:45], v[68:69], -v[90:91]
	v_fma_f64 v[46:47], v[46:47], v[68:69], v[70:71]
	;; [unrolled: 2-line block ×6, first 2 shown]
	v_add_f64 v[63:64], v[48:49], v[52:53]
	v_add_f64 v[65:66], v[50:51], v[54:55]
	v_add_f64 v[48:49], v[48:49], -v[52:53]
	v_add_f64 v[50:51], v[50:51], -v[54:55]
	v_add_f64 v[52:53], v[44:45], v[40:41]
	v_add_f64 v[54:55], v[46:47], v[42:43]
	v_add_f64 v[40:41], v[44:45], -v[40:41]
	v_add_f64 v[42:43], v[46:47], -v[42:43]
	v_add_f64 v[44:45], v[36:37], v[32:33]
	v_add_f64 v[46:47], v[38:39], v[34:35]
	v_add_f64 v[32:33], v[32:33], -v[36:37]
	v_add_f64 v[34:35], v[34:35], -v[38:39]
	v_add_f64 v[36:37], v[52:53], v[63:64]
	v_add_f64 v[38:39], v[54:55], v[65:66]
	v_add_f64 v[67:68], v[52:53], -v[63:64]
	v_add_f64 v[69:70], v[54:55], -v[65:66]
	v_add_f64 v[63:64], v[63:64], -v[44:45]
	v_add_f64 v[65:66], v[65:66], -v[46:47]
	;; [unrolled: 1-line block ×4, first 2 shown]
	v_add_f64 v[71:72], v[32:33], v[40:41]
	v_add_f64 v[73:74], v[34:35], v[42:43]
	v_add_f64 v[75:76], v[32:33], -v[40:41]
	v_add_f64 v[77:78], v[34:35], -v[42:43]
	v_add_f64 v[36:37], v[44:45], v[36:37]
	v_add_f64 v[38:39], v[46:47], v[38:39]
	v_add_f64 v[40:41], v[40:41], -v[48:49]
	v_add_f64 v[42:43], v[42:43], -v[50:51]
	;; [unrolled: 1-line block ×4, first 2 shown]
	v_add_f64 v[44:45], v[71:72], v[48:49]
	v_add_f64 v[46:47], v[73:74], v[50:51]
	v_mul_f64 v[48:49], v[63:64], s[4:5]
	v_mul_f64 v[50:51], v[65:66], s[4:5]
	;; [unrolled: 1-line block ×6, first 2 shown]
	v_add_f64 v[28:29], v[28:29], v[36:37]
	v_add_f64 v[30:31], v[30:31], v[38:39]
	v_mul_f64 v[75:76], v[40:41], s[8:9]
	v_mul_f64 v[77:78], v[42:43], s[8:9]
	v_fma_f64 v[52:53], v[52:53], s[6:7], v[48:49]
	v_fma_f64 v[54:55], v[54:55], s[6:7], v[50:51]
	v_fma_f64 v[63:64], v[67:68], s[18:19], -v[63:64]
	v_fma_f64 v[65:66], v[69:70], s[18:19], -v[65:66]
	;; [unrolled: 1-line block ×4, first 2 shown]
	v_fma_f64 v[67:68], v[32:33], s[22:23], v[71:72]
	v_fma_f64 v[69:70], v[34:35], s[22:23], v[73:74]
	;; [unrolled: 1-line block ×4, first 2 shown]
	v_fma_f64 v[32:33], v[32:33], s[26:27], -v[75:76]
	v_fma_f64 v[34:35], v[34:35], s[26:27], -v[77:78]
	;; [unrolled: 1-line block ×4, first 2 shown]
	v_fma_f64 v[67:68], v[44:45], s[24:25], v[67:68]
	v_fma_f64 v[69:70], v[46:47], s[24:25], v[69:70]
	v_add_f64 v[52:53], v[52:53], v[36:37]
	v_add_f64 v[54:55], v[54:55], v[38:39]
	v_fma_f64 v[75:76], v[44:45], s[24:25], v[32:33]
	v_fma_f64 v[77:78], v[46:47], s[24:25], v[34:35]
	v_add_f64 v[48:49], v[48:49], v[36:37]
	v_add_f64 v[50:51], v[50:51], v[38:39]
	;; [unrolled: 4-line block ×3, first 2 shown]
	v_add_f64 v[32:33], v[69:70], v[52:53]
	v_add_f64 v[34:35], v[54:55], -v[67:68]
	v_add_f64 v[36:37], v[77:78], v[48:49]
	v_add_f64 v[38:39], v[50:51], -v[75:76]
	v_add_f64 v[48:49], v[48:49], -v[77:78]
	v_add_f64 v[50:51], v[75:76], v[50:51]
	v_add_f64 v[40:41], v[44:45], -v[73:74]
	v_add_f64 v[42:43], v[71:72], v[46:47]
	v_add_f64 v[44:45], v[73:74], v[44:45]
	v_add_f64 v[46:47], v[46:47], -v[71:72]
	v_add_f64 v[52:53], v[52:53], -v[69:70]
	v_add_f64 v[54:55], v[67:68], v[54:55]
	ds_write_b128 v100, v[28:31]
	ds_write_b128 v100, v[32:35] offset:352
	ds_write_b128 v100, v[36:39] offset:704
	;; [unrolled: 1-line block ×6, first 2 shown]
	s_and_saveexec_b64 s[28:29], vcc
	s_cbranch_execz .LBB0_19
; %bb.18:
	v_lshrrev_b32_e32 v28, 20, v62
	v_mul_lo_u16_e32 v28, 22, v28
	v_sub_u16_e32 v70, v59, v28
	v_mul_u32_u24_e32 v28, 6, v70
	v_lshlrev_b32_e32 v52, 4, v28
	global_load_dwordx4 v[28:31], v52, s[12:13] offset:224
	global_load_dwordx4 v[32:35], v52, s[12:13] offset:208
	;; [unrolled: 1-line block ×6, first 2 shown]
	v_lshrrev_b16_e32 v52, 1, v59
	v_and_b32_e32 v52, 0x7f, v52
	v_mul_lo_u16_e32 v52, 0xbb, v52
	v_lshrrev_b16_e32 v59, 11, v52
	s_waitcnt vmcnt(5)
	v_mul_f64 v[52:53], v[18:19], v[30:31]
	s_waitcnt vmcnt(4)
	v_mul_f64 v[54:55], v[2:3], v[34:35]
	;; [unrolled: 2-line block ×6, first 2 shown]
	v_mul_f64 v[38:39], v[12:13], v[38:39]
	v_mul_f64 v[42:43], v[20:21], v[42:43]
	;; [unrolled: 1-line block ×6, first 2 shown]
	v_fma_f64 v[12:13], v[12:13], v[36:37], -v[62:63]
	v_fma_f64 v[20:21], v[20:21], v[40:41], -v[64:65]
	;; [unrolled: 1-line block ×4, first 2 shown]
	v_fma_f64 v[14:15], v[14:15], v[36:37], v[38:39]
	v_fma_f64 v[22:23], v[22:23], v[40:41], v[42:43]
	;; [unrolled: 1-line block ×4, first 2 shown]
	v_fma_f64 v[16:17], v[16:17], v[28:29], -v[52:53]
	v_fma_f64 v[0:1], v[0:1], v[32:33], -v[54:55]
	v_fma_f64 v[2:3], v[2:3], v[32:33], v[34:35]
	v_fma_f64 v[18:19], v[18:19], v[28:29], v[30:31]
	v_add_f64 v[30:31], v[12:13], -v[20:21]
	v_add_f64 v[32:33], v[8:9], -v[24:25]
	v_add_f64 v[36:37], v[14:15], v[22:23]
	v_add_f64 v[38:39], v[10:11], v[26:27]
	v_add_f64 v[12:13], v[12:13], v[20:21]
	v_add_f64 v[8:9], v[8:9], v[24:25]
	v_add_f64 v[28:29], v[16:17], -v[0:1]
	v_add_f64 v[34:35], v[2:3], v[18:19]
	v_add_f64 v[0:1], v[0:1], v[16:17]
	v_add_f64 v[2:3], v[18:19], -v[2:3]
	v_add_f64 v[14:15], v[14:15], -v[22:23]
	;; [unrolled: 1-line block ×3, first 2 shown]
	v_add_f64 v[26:27], v[36:37], v[38:39]
	v_add_f64 v[42:43], v[12:13], v[8:9]
	;; [unrolled: 1-line block ×3, first 2 shown]
	v_add_f64 v[18:19], v[28:29], -v[30:31]
	v_add_f64 v[20:21], v[32:33], -v[28:29]
	;; [unrolled: 1-line block ×8, first 2 shown]
	v_add_f64 v[26:27], v[34:35], v[26:27]
	v_add_f64 v[38:39], v[0:1], v[42:43]
	;; [unrolled: 1-line block ×3, first 2 shown]
	v_add_f64 v[30:31], v[30:31], -v[32:33]
	v_add_f64 v[8:9], v[12:13], -v[8:9]
	;; [unrolled: 1-line block ×4, first 2 shown]
	v_add_f64 v[14:15], v[16:17], v[32:33]
	v_mul_f64 v[16:17], v[18:19], s[16:17]
	v_mul_f64 v[24:25], v[24:25], s[4:5]
	;; [unrolled: 1-line block ×5, first 2 shown]
	v_add_f64 v[2:3], v[6:7], v[26:27]
	v_add_f64 v[0:1], v[4:5], v[38:39]
	;; [unrolled: 1-line block ×3, first 2 shown]
	v_mul_f64 v[42:43], v[30:31], s[8:9]
	v_mul_f64 v[44:45], v[12:13], s[8:9]
	;; [unrolled: 1-line block ×3, first 2 shown]
	v_fma_f64 v[46:47], v[20:21], s[22:23], v[16:17]
	v_fma_f64 v[22:23], v[22:23], s[6:7], v[24:25]
	;; [unrolled: 1-line block ×4, first 2 shown]
	v_fma_f64 v[28:29], v[8:9], s[20:21], -v[34:35]
	v_fma_f64 v[26:27], v[26:27], s[14:15], v[2:3]
	v_fma_f64 v[8:9], v[8:9], s[18:19], -v[32:33]
	v_fma_f64 v[32:33], v[38:39], s[14:15], v[0:1]
	v_fma_f64 v[20:21], v[20:21], s[26:27], -v[42:43]
	v_fma_f64 v[24:25], v[36:37], s[20:21], -v[24:25]
	;; [unrolled: 1-line block ×6, first 2 shown]
	v_fma_f64 v[30:31], v[14:15], s[24:25], v[46:47]
	v_fma_f64 v[4:5], v[10:11], s[24:25], v[4:5]
	v_add_f64 v[36:37], v[22:23], v[26:27]
	v_add_f64 v[38:39], v[6:7], v[32:33]
	v_fma_f64 v[20:21], v[14:15], s[24:25], v[20:21]
	v_add_f64 v[22:23], v[24:25], v[26:27]
	v_fma_f64 v[34:35], v[10:11], s[24:25], v[34:35]
	;; [unrolled: 2-line block ×4, first 2 shown]
	v_add_f64 v[8:9], v[8:9], v[32:33]
	v_add_f64 v[26:27], v[36:37], -v[30:31]
	v_add_f64 v[24:25], v[4:5], v[38:39]
	v_add_f64 v[10:11], v[20:21], v[22:23]
	v_add_f64 v[22:23], v[22:23], -v[20:21]
	v_add_f64 v[20:21], v[34:35], v[28:29]
	v_add_f64 v[14:15], v[18:19], -v[16:17]
	;; [unrolled: 2-line block ×4, first 2 shown]
	v_lshlrev_b32_e32 v50, 4, v70
	v_mul_u32_u24_e32 v51, 0x9a0, v59
	v_add_f64 v[6:7], v[30:31], v[36:37]
	v_add_f64 v[4:5], v[38:39], -v[4:5]
	v_add3_u32 v28, 0, v51, v50
	ds_write_b128 v28, v[0:3]
	ds_write_b128 v28, v[24:27] offset:352
	ds_write_b128 v28, v[20:23] offset:704
	;; [unrolled: 1-line block ×6, first 2 shown]
.LBB0_19:
	s_or_b64 exec, exec, s[28:29]
	v_lshlrev_b32_e32 v0, 2, v58
	v_mov_b32_e32 v1, 0
	v_lshlrev_b64 v[2:3], 4, v[0:1]
	v_mov_b32_e32 v0, s13
	v_add_co_u32_e32 v18, vcc, s12, v2
	v_addc_co_u32_e32 v19, vcc, v0, v3, vcc
	s_waitcnt lgkmcnt(0)
	s_barrier
	global_load_dwordx4 v[2:5], v[18:19], off offset:2288
	global_load_dwordx4 v[6:9], v[18:19], off offset:2304
	;; [unrolled: 1-line block ×4, first 2 shown]
	ds_read_b128 v[18:21], v114
	ds_read_b128 v[22:25], v114 offset:2464
	ds_read_b128 v[26:29], v114 offset:4928
	;; [unrolled: 1-line block ×9, first 2 shown]
	s_mov_b32 s8, 0x134454ff
	s_mov_b32 s9, 0x3fee6f0e
	;; [unrolled: 1-line block ×10, first 2 shown]
	v_mov_b32_e32 v59, v1
	s_waitcnt vmcnt(0) lgkmcnt(0)
	s_barrier
	v_mul_f64 v[54:55], v[28:29], v[4:5]
	v_mul_f64 v[66:67], v[26:27], v[4:5]
	;; [unrolled: 1-line block ×14, first 2 shown]
	v_fma_f64 v[26:27], v[26:27], v[2:3], -v[54:55]
	v_fma_f64 v[28:29], v[28:29], v[2:3], v[66:67]
	v_fma_f64 v[34:35], v[34:35], v[6:7], -v[68:69]
	v_fma_f64 v[36:37], v[36:37], v[6:7], v[70:71]
	;; [unrolled: 2-line block ×4, first 2 shown]
	v_mul_f64 v[82:83], v[40:41], v[8:9]
	v_mul_f64 v[8:9], v[38:39], v[8:9]
	v_fma_f64 v[30:31], v[30:31], v[2:3], -v[80:81]
	v_fma_f64 v[32:33], v[32:33], v[2:3], v[4:5]
	v_fma_f64 v[46:47], v[46:47], v[10:11], -v[84:85]
	v_fma_f64 v[48:49], v[48:49], v[10:11], v[12:13]
	;; [unrolled: 2-line block ×3, first 2 shown]
	v_add_f64 v[2:3], v[18:19], v[26:27]
	v_add_f64 v[4:5], v[34:35], v[42:43]
	v_add_f64 v[10:11], v[26:27], -v[34:35]
	v_add_f64 v[12:13], v[50:51], -v[42:43]
	v_add_f64 v[14:15], v[26:27], v[50:51]
	v_add_f64 v[68:69], v[36:37], v[44:45]
	;; [unrolled: 1-line block ×4, first 2 shown]
	v_fma_f64 v[40:41], v[40:41], v[6:7], v[8:9]
	v_add_f64 v[8:9], v[36:37], -v[44:45]
	v_add_f64 v[70:71], v[34:35], -v[42:43]
	;; [unrolled: 1-line block ×4, first 2 shown]
	v_add_f64 v[2:3], v[2:3], v[34:35]
	v_fma_f64 v[4:5], v[4:5], -0.5, v[18:19]
	v_add_f64 v[10:11], v[10:11], v[12:13]
	v_fma_f64 v[12:13], v[14:15], -0.5, v[18:19]
	v_fma_f64 v[18:19], v[68:69], -0.5, v[20:21]
	;; [unrolled: 1-line block ×3, first 2 shown]
	v_fma_f64 v[38:39], v[38:39], v[6:7], -v[82:83]
	v_add_f64 v[6:7], v[28:29], -v[52:53]
	v_add_f64 v[16:17], v[34:35], -v[26:27]
	;; [unrolled: 1-line block ×3, first 2 shown]
	v_add_f64 v[14:15], v[66:67], v[36:37]
	v_add_f64 v[64:65], v[42:43], -v[50:51]
	v_add_f64 v[28:29], v[36:37], -v[28:29]
	;; [unrolled: 1-line block ×3, first 2 shown]
	v_add_f64 v[34:35], v[72:73], v[74:75]
	v_add_f64 v[2:3], v[2:3], v[42:43]
	v_fma_f64 v[68:69], v[8:9], s[16:17], v[12:13]
	v_fma_f64 v[12:13], v[8:9], s[8:9], v[12:13]
	;; [unrolled: 1-line block ×4, first 2 shown]
	v_add_f64 v[82:83], v[38:39], v[46:47]
	v_fma_f64 v[42:43], v[6:7], s[8:9], v[4:5]
	v_fma_f64 v[4:5], v[6:7], s[16:17], v[4:5]
	v_add_f64 v[14:15], v[14:15], v[44:45]
	v_fma_f64 v[44:45], v[26:27], s[16:17], v[18:19]
	v_fma_f64 v[18:19], v[26:27], s[8:9], v[18:19]
	v_add_f64 v[80:81], v[22:23], v[30:31]
	v_add_f64 v[16:17], v[16:17], v[64:65]
	;; [unrolled: 1-line block ×4, first 2 shown]
	v_fma_f64 v[50:51], v[6:7], s[4:5], v[68:69]
	v_fma_f64 v[12:13], v[6:7], s[14:15], v[12:13]
	v_fma_f64 v[68:69], v[26:27], s[14:15], v[72:73]
	v_fma_f64 v[20:21], v[26:27], s[4:5], v[20:21]
	v_add_f64 v[84:85], v[32:33], -v[62:63]
	v_fma_f64 v[64:65], v[82:83], -0.5, v[22:23]
	v_fma_f64 v[42:43], v[8:9], s[4:5], v[42:43]
	v_fma_f64 v[8:9], v[8:9], s[14:15], v[4:5]
	v_add_f64 v[4:5], v[14:15], v[52:53]
	v_fma_f64 v[44:45], v[70:71], s[14:15], v[44:45]
	v_fma_f64 v[52:53], v[70:71], s[4:5], v[18:19]
	v_add_f64 v[36:37], v[80:81], v[38:39]
	v_fma_f64 v[14:15], v[16:17], s[6:7], v[50:51]
	v_fma_f64 v[18:19], v[16:17], s[6:7], v[12:13]
	;; [unrolled: 1-line block ×4, first 2 shown]
	v_add_f64 v[28:29], v[40:41], v[48:49]
	v_add_f64 v[92:93], v[30:31], v[54:55]
	;; [unrolled: 1-line block ×3, first 2 shown]
	v_fma_f64 v[74:75], v[84:85], s[8:9], v[64:65]
	v_fma_f64 v[6:7], v[10:11], s[6:7], v[42:43]
	;; [unrolled: 1-line block ×6, first 2 shown]
	v_add_f64 v[64:65], v[24:25], v[32:33]
	v_add_f64 v[88:89], v[30:31], -v[38:39]
	v_add_f64 v[36:37], v[36:37], v[46:47]
	v_add_f64 v[44:45], v[38:39], -v[30:31]
	v_add_f64 v[52:53], v[46:47], -v[54:55]
	v_fma_f64 v[28:29], v[28:29], -0.5, v[24:25]
	v_add_f64 v[30:31], v[30:31], -v[54:55]
	v_add_f64 v[86:87], v[40:41], -v[48:49]
	v_fma_f64 v[42:43], v[92:93], -0.5, v[22:23]
	v_add_f64 v[38:39], v[38:39], -v[46:47]
	v_fma_f64 v[24:25], v[50:51], -0.5, v[24:25]
	v_add_f64 v[90:91], v[54:55], -v[46:47]
	v_add_f64 v[46:47], v[64:65], v[40:41]
	v_add_f64 v[22:23], v[36:37], v[54:55]
	;; [unrolled: 1-line block ×3, first 2 shown]
	v_fma_f64 v[50:51], v[30:31], s[16:17], v[28:29]
	v_add_f64 v[52:53], v[32:33], -v[40:41]
	v_add_f64 v[54:55], v[62:63], -v[48:49]
	v_fma_f64 v[36:37], v[86:87], s[16:17], v[42:43]
	v_fma_f64 v[64:65], v[38:39], s[8:9], v[24:25]
	v_add_f64 v[32:33], v[40:41], -v[32:33]
	v_add_f64 v[40:41], v[48:49], -v[62:63]
	v_fma_f64 v[42:43], v[86:87], s[8:9], v[42:43]
	v_fma_f64 v[28:29], v[30:31], s[8:9], v[28:29]
	;; [unrolled: 1-line block ×3, first 2 shown]
	v_add_f64 v[46:47], v[46:47], v[48:49]
	v_add_f64 v[66:67], v[88:89], v[90:91]
	v_fma_f64 v[26:27], v[86:87], s[4:5], v[74:75]
	v_fma_f64 v[48:49], v[38:39], s[14:15], v[50:51]
	v_add_f64 v[50:51], v[52:53], v[54:55]
	v_fma_f64 v[34:35], v[86:87], s[14:15], v[34:35]
	v_fma_f64 v[36:37], v[84:85], s[4:5], v[36:37]
	v_fma_f64 v[54:55], v[30:31], s[14:15], v[64:65]
	v_add_f64 v[40:41], v[32:33], v[40:41]
	v_fma_f64 v[42:43], v[84:85], s[14:15], v[42:43]
	;; [unrolled: 4-line block ×3, first 2 shown]
	v_fma_f64 v[28:29], v[50:51], s[6:7], v[48:49]
	v_fma_f64 v[30:31], v[66:67], s[6:7], v[34:35]
	;; [unrolled: 1-line block ×7, first 2 shown]
	ds_write_b128 v114, v[2:5]
	ds_write_b128 v114, v[6:9] offset:2464
	ds_write_b128 v114, v[14:17] offset:4928
	;; [unrolled: 1-line block ×9, first 2 shown]
	v_lshlrev_b64 v[8:9], 4, v[58:59]
	s_movk_i32 s4, 0x2000
	v_add_co_u32_e32 v20, vcc, s12, v8
	v_addc_co_u32_e32 v21, vcc, v0, v9, vcc
	v_add_co_u32_e32 v0, vcc, s4, v20
	v_addc_co_u32_e32 v1, vcc, 0, v21, vcc
	s_movk_i32 s4, 0x3000
	v_add_co_u32_e32 v4, vcc, s4, v20
	v_addc_co_u32_e32 v5, vcc, 0, v21, vcc
	s_waitcnt lgkmcnt(0)
	s_barrier
	global_load_dwordx4 v[0:3], v[0:1], off offset:3952
	s_movk_i32 s4, 0x4000
	global_load_dwordx4 v[4:7], v[4:5], off offset:2320
	v_add_co_u32_e32 v18, vcc, s4, v20
	v_addc_co_u32_e32 v19, vcc, 0, v21, vcc
	global_load_dwordx4 v[10:13], v[18:19], off offset:688
	global_load_dwordx4 v[14:17], v[18:19], off offset:3152
	s_movk_i32 s4, 0x5000
	v_add_co_u32_e32 v18, vcc, s4, v20
	v_addc_co_u32_e32 v19, vcc, 0, v21, vcc
	global_load_dwordx4 v[18:21], v[18:19], off offset:1520
	ds_read_b128 v[22:25], v114 offset:12320
	ds_read_b128 v[26:29], v114
	ds_read_b128 v[30:33], v114 offset:2464
	ds_read_b128 v[34:37], v114 offset:14784
	;; [unrolled: 1-line block ×8, first 2 shown]
	s_waitcnt vmcnt(0) lgkmcnt(0)
	s_barrier
	s_add_u32 s6, s12, 0x5f90
	s_addc_u32 s7, s13, 0
	v_cmp_ne_u32_e32 vcc, 0, v58
	v_mul_f64 v[54:55], v[24:25], v[2:3]
	v_mul_f64 v[2:3], v[22:23], v[2:3]
	;; [unrolled: 1-line block ×4, first 2 shown]
	v_fma_f64 v[22:23], v[22:23], v[0:1], -v[54:55]
	v_fma_f64 v[2:3], v[24:25], v[0:1], v[2:3]
	v_fma_f64 v[24:25], v[34:35], v[4:5], -v[70:71]
	v_fma_f64 v[34:35], v[36:37], v[4:5], v[6:7]
	v_mul_f64 v[4:5], v[40:41], v[12:13]
	v_mul_f64 v[6:7], v[38:39], v[12:13]
	;; [unrolled: 1-line block ×6, first 2 shown]
	v_add_f64 v[0:1], v[26:27], -v[22:23]
	v_add_f64 v[2:3], v[28:29], -v[2:3]
	v_fma_f64 v[22:23], v[38:39], v[10:11], -v[4:5]
	v_fma_f64 v[38:39], v[40:41], v[10:11], v[6:7]
	v_fma_f64 v[40:41], v[62:63], v[14:15], -v[12:13]
	v_fma_f64 v[54:55], v[64:65], v[14:15], v[16:17]
	;; [unrolled: 2-line block ×3, first 2 shown]
	v_add_f64 v[10:11], v[30:31], -v[24:25]
	v_add_f64 v[12:13], v[32:33], -v[34:35]
	;; [unrolled: 1-line block ×6, first 2 shown]
	v_fma_f64 v[4:5], v[26:27], 2.0, -v[0:1]
	v_fma_f64 v[6:7], v[28:29], 2.0, -v[2:3]
	v_add_f64 v[22:23], v[42:43], -v[36:37]
	v_add_f64 v[24:25], v[44:45], -v[62:63]
	v_fma_f64 v[26:27], v[30:31], 2.0, -v[10:11]
	v_fma_f64 v[28:29], v[32:33], 2.0, -v[12:13]
	;; [unrolled: 1-line block ×8, first 2 shown]
	ds_write_b128 v114, v[4:7]
	ds_write_b128 v114, v[0:3] offset:12320
	ds_write_b128 v114, v[26:29] offset:2464
	ds_write_b128 v114, v[10:13] offset:14784
	ds_write_b128 v114, v[30:33] offset:4928
	ds_write_b128 v114, v[14:17] offset:17248
	ds_write_b128 v114, v[34:37] offset:7392
	ds_write_b128 v114, v[18:21] offset:19712
	ds_write_b128 v114, v[38:41] offset:9856
	ds_write_b128 v114, v[22:25] offset:22176
	s_waitcnt lgkmcnt(0)
	s_barrier
	ds_read_b128 v[4:7], v114
	v_lshlrev_b32_e32 v0, 4, v58
	v_sub_u32_e32 v14, 0, v0
                                        ; implicit-def: $vgpr0_vgpr1
                                        ; implicit-def: $vgpr10_vgpr11
                                        ; implicit-def: $vgpr12_vgpr13
	s_and_saveexec_b64 s[4:5], vcc
	s_xor_b64 s[4:5], exec, s[4:5]
	s_cbranch_execz .LBB0_21
; %bb.20:
	v_mov_b32_e32 v1, s7
	v_add_co_u32_e32 v0, vcc, s6, v8
	v_addc_co_u32_e32 v1, vcc, v1, v9, vcc
	global_load_dwordx4 v[15:18], v[0:1], off
	ds_read_b128 v[0:3], v14 offset:24640
	s_waitcnt lgkmcnt(0)
	v_add_f64 v[10:11], v[4:5], -v[0:1]
	v_add_f64 v[12:13], v[6:7], v[2:3]
	v_add_f64 v[2:3], v[6:7], -v[2:3]
	v_add_f64 v[0:1], v[4:5], v[0:1]
	v_mul_f64 v[6:7], v[10:11], 0.5
	v_mul_f64 v[4:5], v[12:13], 0.5
	v_mul_f64 v[2:3], v[2:3], 0.5
	s_waitcnt vmcnt(0)
	v_mul_f64 v[10:11], v[6:7], v[17:18]
	v_fma_f64 v[12:13], v[4:5], v[17:18], v[2:3]
	v_fma_f64 v[2:3], v[4:5], v[17:18], -v[2:3]
	v_fma_f64 v[19:20], v[0:1], 0.5, v[10:11]
	v_fma_f64 v[0:1], v[0:1], 0.5, -v[10:11]
	v_fma_f64 v[12:13], -v[15:16], v[6:7], v[12:13]
	v_fma_f64 v[2:3], -v[15:16], v[6:7], v[2:3]
	v_fma_f64 v[10:11], v[4:5], v[15:16], v[19:20]
	v_fma_f64 v[0:1], -v[4:5], v[15:16], v[0:1]
                                        ; implicit-def: $vgpr4_vgpr5
.LBB0_21:
	s_andn2_saveexec_b64 s[4:5], s[4:5]
	s_cbranch_execz .LBB0_23
; %bb.22:
	s_waitcnt lgkmcnt(0)
	v_add_f64 v[10:11], v[4:5], v[6:7]
	v_add_f64 v[0:1], v[4:5], -v[6:7]
	v_mov_b32_e32 v4, 0
	ds_read_b64 v[2:3], v4 offset:12328
	v_mov_b32_e32 v12, 0
	v_mov_b32_e32 v13, 0
	s_waitcnt lgkmcnt(0)
	v_xor_b32_e32 v3, 0x80000000, v3
	ds_write_b64 v4, v[2:3] offset:12328
	v_mov_b32_e32 v2, v12
	v_mov_b32_e32 v3, v13
.LBB0_23:
	s_or_b64 exec, exec, s[4:5]
	s_waitcnt lgkmcnt(0)
	v_mov_b32_e32 v4, s7
	v_add_co_u32_e32 v19, vcc, s6, v8
	v_addc_co_u32_e32 v20, vcc, v4, v9, vcc
	global_load_dwordx4 v[4:7], v[19:20], off offset:2464
	s_movk_i32 s4, 0x1000
	v_add_co_u32_e32 v21, vcc, s4, v19
	v_addc_co_u32_e32 v22, vcc, 0, v20, vcc
	global_load_dwordx4 v[15:18], v[21:22], off offset:832
	ds_write2_b64 v114, v[10:11], v[12:13] offset1:1
	ds_write_b128 v14, v[0:3] offset:24640
	ds_read_b128 v[0:3], v114 offset:2464
	ds_read_b128 v[8:11], v14 offset:22176
	s_movk_i32 s4, 0x2000
	s_waitcnt lgkmcnt(0)
	v_add_f64 v[12:13], v[0:1], -v[8:9]
	v_add_f64 v[23:24], v[2:3], v[10:11]
	v_add_f64 v[2:3], v[2:3], -v[10:11]
	v_add_f64 v[0:1], v[0:1], v[8:9]
	v_mul_f64 v[10:11], v[12:13], 0.5
	v_mul_f64 v[12:13], v[23:24], 0.5
	;; [unrolled: 1-line block ×3, first 2 shown]
	s_waitcnt vmcnt(1)
	v_mul_f64 v[8:9], v[10:11], v[6:7]
	v_fma_f64 v[23:24], v[12:13], v[6:7], v[2:3]
	v_fma_f64 v[6:7], v[12:13], v[6:7], -v[2:3]
	v_fma_f64 v[25:26], v[0:1], 0.5, v[8:9]
	v_fma_f64 v[8:9], v[0:1], 0.5, -v[8:9]
	global_load_dwordx4 v[0:3], v[21:22], off offset:3296
	v_fma_f64 v[21:22], -v[4:5], v[10:11], v[23:24]
	v_fma_f64 v[6:7], -v[4:5], v[10:11], v[6:7]
	v_fma_f64 v[10:11], v[12:13], v[4:5], v[25:26]
	v_fma_f64 v[4:5], -v[12:13], v[4:5], v[8:9]
	v_add_u32_e32 v8, 0x800, v114
	ds_write2_b64 v8, v[10:11], v[21:22] offset0:52 offset1:53
	ds_write_b128 v14, v[4:7] offset:22176
	ds_read_b128 v[4:7], v114 offset:4928
	ds_read_b128 v[8:11], v14 offset:19712
	s_waitcnt lgkmcnt(0)
	v_add_f64 v[12:13], v[4:5], -v[8:9]
	v_add_f64 v[21:22], v[6:7], v[10:11]
	v_add_f64 v[6:7], v[6:7], -v[10:11]
	v_add_f64 v[4:5], v[4:5], v[8:9]
	v_mul_f64 v[10:11], v[12:13], 0.5
	v_mul_f64 v[12:13], v[21:22], 0.5
	;; [unrolled: 1-line block ×3, first 2 shown]
	s_waitcnt vmcnt(1)
	v_mul_f64 v[8:9], v[10:11], v[17:18]
	v_fma_f64 v[21:22], v[12:13], v[17:18], v[6:7]
	v_fma_f64 v[17:18], v[12:13], v[17:18], -v[6:7]
	v_fma_f64 v[23:24], v[4:5], 0.5, v[8:9]
	v_fma_f64 v[8:9], v[4:5], 0.5, -v[8:9]
	v_add_co_u32_e32 v4, vcc, s4, v19
	v_addc_co_u32_e32 v5, vcc, 0, v20, vcc
	global_load_dwordx4 v[4:7], v[4:5], off offset:1664
	v_fma_f64 v[19:20], -v[15:16], v[10:11], v[21:22]
	v_fma_f64 v[10:11], -v[15:16], v[10:11], v[17:18]
	v_fma_f64 v[17:18], v[12:13], v[15:16], v[23:24]
	v_fma_f64 v[8:9], -v[12:13], v[15:16], v[8:9]
	v_add_u32_e32 v12, 0x1000, v114
	ds_write2_b64 v12, v[17:18], v[19:20] offset0:104 offset1:105
	ds_write_b128 v14, v[8:11] offset:19712
	ds_read_b128 v[8:11], v114 offset:7392
	ds_read_b128 v[15:18], v14 offset:17248
	s_waitcnt lgkmcnt(0)
	v_add_f64 v[12:13], v[8:9], -v[15:16]
	v_add_f64 v[19:20], v[10:11], v[17:18]
	v_add_f64 v[10:11], v[10:11], -v[17:18]
	v_add_f64 v[8:9], v[8:9], v[15:16]
	v_mul_f64 v[12:13], v[12:13], 0.5
	v_mul_f64 v[17:18], v[19:20], 0.5
	;; [unrolled: 1-line block ×3, first 2 shown]
	s_waitcnt vmcnt(1)
	v_mul_f64 v[15:16], v[12:13], v[2:3]
	v_fma_f64 v[19:20], v[17:18], v[2:3], v[10:11]
	v_fma_f64 v[2:3], v[17:18], v[2:3], -v[10:11]
	v_fma_f64 v[10:11], v[8:9], 0.5, v[15:16]
	v_fma_f64 v[8:9], v[8:9], 0.5, -v[15:16]
	v_fma_f64 v[15:16], -v[0:1], v[12:13], v[19:20]
	v_fma_f64 v[2:3], -v[0:1], v[12:13], v[2:3]
	v_fma_f64 v[10:11], v[17:18], v[0:1], v[10:11]
	v_fma_f64 v[0:1], -v[17:18], v[0:1], v[8:9]
	v_add_u32_e32 v8, 0x1800, v114
	ds_write2_b64 v8, v[10:11], v[15:16] offset0:156 offset1:157
	ds_write_b128 v14, v[0:3] offset:17248
	ds_read_b128 v[0:3], v114 offset:9856
	ds_read_b128 v[8:11], v14 offset:14784
	s_waitcnt lgkmcnt(0)
	v_add_f64 v[12:13], v[0:1], -v[8:9]
	v_add_f64 v[15:16], v[2:3], v[10:11]
	v_add_f64 v[2:3], v[2:3], -v[10:11]
	v_add_f64 v[0:1], v[0:1], v[8:9]
	v_mul_f64 v[10:11], v[12:13], 0.5
	v_mul_f64 v[12:13], v[15:16], 0.5
	;; [unrolled: 1-line block ×3, first 2 shown]
	s_waitcnt vmcnt(0)
	v_mul_f64 v[8:9], v[10:11], v[6:7]
	v_fma_f64 v[15:16], v[12:13], v[6:7], v[2:3]
	v_fma_f64 v[2:3], v[12:13], v[6:7], -v[2:3]
	v_fma_f64 v[6:7], v[0:1], 0.5, v[8:9]
	v_fma_f64 v[0:1], v[0:1], 0.5, -v[8:9]
	v_fma_f64 v[8:9], -v[4:5], v[10:11], v[15:16]
	v_fma_f64 v[2:3], -v[4:5], v[10:11], v[2:3]
	v_fma_f64 v[6:7], v[12:13], v[4:5], v[6:7]
	v_fma_f64 v[0:1], -v[12:13], v[4:5], v[0:1]
	v_add_u32_e32 v4, 0x2000, v114
	ds_write2_b64 v4, v[6:7], v[8:9] offset0:208 offset1:209
	ds_write_b128 v14, v[0:3] offset:14784
	s_waitcnt lgkmcnt(0)
	s_barrier
	s_and_saveexec_b64 s[4:5], s[0:1]
	s_cbranch_execz .LBB0_26
; %bb.24:
	v_mul_lo_u32 v2, s3, v60
	v_mul_lo_u32 v3, s2, v61
	v_mad_u64_u32 v[0:1], s[0:1], s2, v60, 0
	v_mov_b32_e32 v6, s11
	v_lshl_add_u32 v12, v58, 4, 0
	v_add3_u32 v1, v1, v3, v2
	v_lshlrev_b64 v[0:1], 4, v[0:1]
	v_mov_b32_e32 v59, 0
	v_add_co_u32_e32 v0, vcc, s10, v0
	v_addc_co_u32_e32 v8, vcc, v6, v1, vcc
	v_lshlrev_b64 v[6:7], 4, v[56:57]
	ds_read_b128 v[2:5], v12
	v_add_co_u32_e32 v1, vcc, v0, v6
	v_addc_co_u32_e32 v0, vcc, v8, v7, vcc
	v_lshlrev_b64 v[6:7], 4, v[58:59]
	s_movk_i32 s0, 0x99
	v_add_co_u32_e32 v10, vcc, v1, v6
	v_addc_co_u32_e32 v11, vcc, v0, v7, vcc
	ds_read_b128 v[6:9], v12 offset:2464
	s_waitcnt lgkmcnt(1)
	global_store_dwordx4 v[10:11], v[2:5], off
	s_nop 0
	v_add_u32_e32 v2, 0x9a, v58
	v_mov_b32_e32 v3, v59
	v_lshlrev_b64 v[2:3], 4, v[2:3]
	v_add_co_u32_e32 v2, vcc, v1, v2
	v_addc_co_u32_e32 v3, vcc, v0, v3, vcc
	s_waitcnt lgkmcnt(0)
	global_store_dwordx4 v[2:3], v[6:9], off
	ds_read_b128 v[2:5], v12 offset:4928
	v_add_u32_e32 v6, 0x134, v58
	v_mov_b32_e32 v7, v59
	v_lshlrev_b64 v[6:7], 4, v[6:7]
	v_add_co_u32_e32 v10, vcc, v1, v6
	v_addc_co_u32_e32 v11, vcc, v0, v7, vcc
	ds_read_b128 v[6:9], v12 offset:7392
	s_waitcnt lgkmcnt(1)
	global_store_dwordx4 v[10:11], v[2:5], off
	s_nop 0
	v_add_u32_e32 v2, 0x1ce, v58
	v_mov_b32_e32 v3, v59
	v_lshlrev_b64 v[2:3], 4, v[2:3]
	v_add_co_u32_e32 v2, vcc, v1, v2
	v_addc_co_u32_e32 v3, vcc, v0, v3, vcc
	s_waitcnt lgkmcnt(0)
	global_store_dwordx4 v[2:3], v[6:9], off
	ds_read_b128 v[2:5], v12 offset:9856
	v_add_u32_e32 v6, 0x268, v58
	v_mov_b32_e32 v7, v59
	v_lshlrev_b64 v[6:7], 4, v[6:7]
	;; [unrolled: 17-line block ×4, first 2 shown]
	v_add_co_u32_e32 v10, vcc, v1, v6
	v_addc_co_u32_e32 v11, vcc, v0, v7, vcc
	ds_read_b128 v[6:9], v12 offset:22176
	s_waitcnt lgkmcnt(1)
	global_store_dwordx4 v[10:11], v[2:5], off
	s_nop 0
	v_add_u32_e32 v2, 0x56a, v58
	v_mov_b32_e32 v3, v59
	v_lshlrev_b64 v[2:3], 4, v[2:3]
	v_add_co_u32_e32 v2, vcc, v1, v2
	v_addc_co_u32_e32 v3, vcc, v0, v3, vcc
	v_cmp_eq_u32_e32 vcc, s0, v58
	s_waitcnt lgkmcnt(0)
	global_store_dwordx4 v[2:3], v[6:9], off
	s_and_b64 exec, exec, vcc
	s_cbranch_execz .LBB0_26
; %bb.25:
	ds_read_b128 v[2:5], v59 offset:24640
	v_add_co_u32_e32 v6, vcc, 0x6000, v1
	v_addc_co_u32_e32 v7, vcc, 0, v0, vcc
	s_waitcnt lgkmcnt(0)
	global_store_dwordx4 v[6:7], v[2:5], off offset:64
.LBB0_26:
	s_endpgm
	.section	.rodata,"a",@progbits
	.p2align	6, 0x0
	.amdhsa_kernel fft_rtc_fwd_len1540_factors_11_2_7_5_2_wgs_154_tpt_154_halfLds_dp_op_CI_CI_unitstride_sbrr_R2C_dirReg
		.amdhsa_group_segment_fixed_size 0
		.amdhsa_private_segment_fixed_size 0
		.amdhsa_kernarg_size 104
		.amdhsa_user_sgpr_count 6
		.amdhsa_user_sgpr_private_segment_buffer 1
		.amdhsa_user_sgpr_dispatch_ptr 0
		.amdhsa_user_sgpr_queue_ptr 0
		.amdhsa_user_sgpr_kernarg_segment_ptr 1
		.amdhsa_user_sgpr_dispatch_id 0
		.amdhsa_user_sgpr_flat_scratch_init 0
		.amdhsa_user_sgpr_private_segment_size 0
		.amdhsa_uses_dynamic_stack 0
		.amdhsa_system_sgpr_private_segment_wavefront_offset 0
		.amdhsa_system_sgpr_workgroup_id_x 1
		.amdhsa_system_sgpr_workgroup_id_y 0
		.amdhsa_system_sgpr_workgroup_id_z 0
		.amdhsa_system_sgpr_workgroup_info 0
		.amdhsa_system_vgpr_workitem_id 0
		.amdhsa_next_free_vgpr 157
		.amdhsa_next_free_sgpr 42
		.amdhsa_reserve_vcc 1
		.amdhsa_reserve_flat_scratch 0
		.amdhsa_float_round_mode_32 0
		.amdhsa_float_round_mode_16_64 0
		.amdhsa_float_denorm_mode_32 3
		.amdhsa_float_denorm_mode_16_64 3
		.amdhsa_dx10_clamp 1
		.amdhsa_ieee_mode 1
		.amdhsa_fp16_overflow 0
		.amdhsa_exception_fp_ieee_invalid_op 0
		.amdhsa_exception_fp_denorm_src 0
		.amdhsa_exception_fp_ieee_div_zero 0
		.amdhsa_exception_fp_ieee_overflow 0
		.amdhsa_exception_fp_ieee_underflow 0
		.amdhsa_exception_fp_ieee_inexact 0
		.amdhsa_exception_int_div_zero 0
	.end_amdhsa_kernel
	.text
.Lfunc_end0:
	.size	fft_rtc_fwd_len1540_factors_11_2_7_5_2_wgs_154_tpt_154_halfLds_dp_op_CI_CI_unitstride_sbrr_R2C_dirReg, .Lfunc_end0-fft_rtc_fwd_len1540_factors_11_2_7_5_2_wgs_154_tpt_154_halfLds_dp_op_CI_CI_unitstride_sbrr_R2C_dirReg
                                        ; -- End function
	.section	.AMDGPU.csdata,"",@progbits
; Kernel info:
; codeLenInByte = 11392
; NumSgprs: 46
; NumVgprs: 157
; ScratchSize: 0
; MemoryBound: 0
; FloatMode: 240
; IeeeMode: 1
; LDSByteSize: 0 bytes/workgroup (compile time only)
; SGPRBlocks: 5
; VGPRBlocks: 39
; NumSGPRsForWavesPerEU: 46
; NumVGPRsForWavesPerEU: 157
; Occupancy: 1
; WaveLimiterHint : 1
; COMPUTE_PGM_RSRC2:SCRATCH_EN: 0
; COMPUTE_PGM_RSRC2:USER_SGPR: 6
; COMPUTE_PGM_RSRC2:TRAP_HANDLER: 0
; COMPUTE_PGM_RSRC2:TGID_X_EN: 1
; COMPUTE_PGM_RSRC2:TGID_Y_EN: 0
; COMPUTE_PGM_RSRC2:TGID_Z_EN: 0
; COMPUTE_PGM_RSRC2:TIDIG_COMP_CNT: 0
	.type	__hip_cuid_51980ef9d7b0b89c,@object ; @__hip_cuid_51980ef9d7b0b89c
	.section	.bss,"aw",@nobits
	.globl	__hip_cuid_51980ef9d7b0b89c
__hip_cuid_51980ef9d7b0b89c:
	.byte	0                               ; 0x0
	.size	__hip_cuid_51980ef9d7b0b89c, 1

	.ident	"AMD clang version 19.0.0git (https://github.com/RadeonOpenCompute/llvm-project roc-6.4.0 25133 c7fe45cf4b819c5991fe208aaa96edf142730f1d)"
	.section	".note.GNU-stack","",@progbits
	.addrsig
	.addrsig_sym __hip_cuid_51980ef9d7b0b89c
	.amdgpu_metadata
---
amdhsa.kernels:
  - .args:
      - .actual_access:  read_only
        .address_space:  global
        .offset:         0
        .size:           8
        .value_kind:     global_buffer
      - .offset:         8
        .size:           8
        .value_kind:     by_value
      - .actual_access:  read_only
        .address_space:  global
        .offset:         16
        .size:           8
        .value_kind:     global_buffer
      - .actual_access:  read_only
        .address_space:  global
        .offset:         24
        .size:           8
        .value_kind:     global_buffer
      - .actual_access:  read_only
        .address_space:  global
        .offset:         32
        .size:           8
        .value_kind:     global_buffer
      - .offset:         40
        .size:           8
        .value_kind:     by_value
      - .actual_access:  read_only
        .address_space:  global
        .offset:         48
        .size:           8
        .value_kind:     global_buffer
      - .actual_access:  read_only
        .address_space:  global
        .offset:         56
        .size:           8
        .value_kind:     global_buffer
      - .offset:         64
        .size:           4
        .value_kind:     by_value
      - .actual_access:  read_only
        .address_space:  global
        .offset:         72
        .size:           8
        .value_kind:     global_buffer
      - .actual_access:  read_only
        .address_space:  global
        .offset:         80
        .size:           8
        .value_kind:     global_buffer
      - .actual_access:  read_only
        .address_space:  global
        .offset:         88
        .size:           8
        .value_kind:     global_buffer
      - .actual_access:  write_only
        .address_space:  global
        .offset:         96
        .size:           8
        .value_kind:     global_buffer
    .group_segment_fixed_size: 0
    .kernarg_segment_align: 8
    .kernarg_segment_size: 104
    .language:       OpenCL C
    .language_version:
      - 2
      - 0
    .max_flat_workgroup_size: 154
    .name:           fft_rtc_fwd_len1540_factors_11_2_7_5_2_wgs_154_tpt_154_halfLds_dp_op_CI_CI_unitstride_sbrr_R2C_dirReg
    .private_segment_fixed_size: 0
    .sgpr_count:     46
    .sgpr_spill_count: 0
    .symbol:         fft_rtc_fwd_len1540_factors_11_2_7_5_2_wgs_154_tpt_154_halfLds_dp_op_CI_CI_unitstride_sbrr_R2C_dirReg.kd
    .uniform_work_group_size: 1
    .uses_dynamic_stack: false
    .vgpr_count:     157
    .vgpr_spill_count: 0
    .wavefront_size: 64
amdhsa.target:   amdgcn-amd-amdhsa--gfx906
amdhsa.version:
  - 1
  - 2
...

	.end_amdgpu_metadata
